;; amdgpu-corpus repo=ROCm/rocFFT kind=compiled arch=gfx906 opt=O3
	.text
	.amdgcn_target "amdgcn-amd-amdhsa--gfx906"
	.amdhsa_code_object_version 6
	.protected	fft_rtc_fwd_len756_factors_2_2_3_3_3_7_wgs_63_tpt_63_dp_op_CI_CI_unitstride_sbrr_C2R_dirReg ; -- Begin function fft_rtc_fwd_len756_factors_2_2_3_3_3_7_wgs_63_tpt_63_dp_op_CI_CI_unitstride_sbrr_C2R_dirReg
	.globl	fft_rtc_fwd_len756_factors_2_2_3_3_3_7_wgs_63_tpt_63_dp_op_CI_CI_unitstride_sbrr_C2R_dirReg
	.p2align	8
	.type	fft_rtc_fwd_len756_factors_2_2_3_3_3_7_wgs_63_tpt_63_dp_op_CI_CI_unitstride_sbrr_C2R_dirReg,@function
fft_rtc_fwd_len756_factors_2_2_3_3_3_7_wgs_63_tpt_63_dp_op_CI_CI_unitstride_sbrr_C2R_dirReg: ; @fft_rtc_fwd_len756_factors_2_2_3_3_3_7_wgs_63_tpt_63_dp_op_CI_CI_unitstride_sbrr_C2R_dirReg
; %bb.0:
	s_load_dwordx4 s[8:11], s[4:5], 0x58
	s_load_dwordx4 s[12:15], s[4:5], 0x0
	;; [unrolled: 1-line block ×3, first 2 shown]
	v_mul_u32_u24_e32 v1, 0x411, v0
	v_add_u32_sdwa v5, s6, v1 dst_sel:DWORD dst_unused:UNUSED_PAD src0_sel:DWORD src1_sel:WORD_1
	v_mov_b32_e32 v3, 0
	s_waitcnt lgkmcnt(0)
	v_cmp_lt_u64_e64 s[0:1], s[14:15], 2
	v_mov_b32_e32 v1, 0
	v_mov_b32_e32 v6, v3
	s_and_b64 vcc, exec, s[0:1]
	v_mov_b32_e32 v2, 0
	s_cbranch_vccnz .LBB0_8
; %bb.1:
	s_load_dwordx2 s[0:1], s[4:5], 0x10
	s_add_u32 s2, s18, 8
	s_addc_u32 s3, s19, 0
	s_add_u32 s6, s16, 8
	v_mov_b32_e32 v1, 0
	s_addc_u32 s7, s17, 0
	v_mov_b32_e32 v2, 0
	s_waitcnt lgkmcnt(0)
	s_add_u32 s20, s0, 8
	v_mov_b32_e32 v57, v2
	s_addc_u32 s21, s1, 0
	s_mov_b64 s[22:23], 1
	v_mov_b32_e32 v56, v1
.LBB0_2:                                ; =>This Inner Loop Header: Depth=1
	s_load_dwordx2 s[24:25], s[20:21], 0x0
                                        ; implicit-def: $vgpr58_vgpr59
	s_waitcnt lgkmcnt(0)
	v_or_b32_e32 v4, s25, v6
	v_cmp_ne_u64_e32 vcc, 0, v[3:4]
	s_and_saveexec_b64 s[0:1], vcc
	s_xor_b64 s[26:27], exec, s[0:1]
	s_cbranch_execz .LBB0_4
; %bb.3:                                ;   in Loop: Header=BB0_2 Depth=1
	v_cvt_f32_u32_e32 v4, s24
	v_cvt_f32_u32_e32 v7, s25
	s_sub_u32 s0, 0, s24
	s_subb_u32 s1, 0, s25
	v_mac_f32_e32 v4, 0x4f800000, v7
	v_rcp_f32_e32 v4, v4
	v_mul_f32_e32 v4, 0x5f7ffffc, v4
	v_mul_f32_e32 v7, 0x2f800000, v4
	v_trunc_f32_e32 v7, v7
	v_mac_f32_e32 v4, 0xcf800000, v7
	v_cvt_u32_f32_e32 v7, v7
	v_cvt_u32_f32_e32 v4, v4
	v_mul_lo_u32 v8, s0, v7
	v_mul_hi_u32 v9, s0, v4
	v_mul_lo_u32 v11, s1, v4
	v_mul_lo_u32 v10, s0, v4
	v_add_u32_e32 v8, v9, v8
	v_add_u32_e32 v8, v8, v11
	v_mul_hi_u32 v9, v4, v10
	v_mul_lo_u32 v11, v4, v8
	v_mul_hi_u32 v13, v4, v8
	v_mul_hi_u32 v12, v7, v10
	v_mul_lo_u32 v10, v7, v10
	v_mul_hi_u32 v14, v7, v8
	v_add_co_u32_e32 v9, vcc, v9, v11
	v_addc_co_u32_e32 v11, vcc, 0, v13, vcc
	v_mul_lo_u32 v8, v7, v8
	v_add_co_u32_e32 v9, vcc, v9, v10
	v_addc_co_u32_e32 v9, vcc, v11, v12, vcc
	v_addc_co_u32_e32 v10, vcc, 0, v14, vcc
	v_add_co_u32_e32 v8, vcc, v9, v8
	v_addc_co_u32_e32 v9, vcc, 0, v10, vcc
	v_add_co_u32_e32 v4, vcc, v4, v8
	v_addc_co_u32_e32 v7, vcc, v7, v9, vcc
	v_mul_lo_u32 v8, s0, v7
	v_mul_hi_u32 v9, s0, v4
	v_mul_lo_u32 v10, s1, v4
	v_mul_lo_u32 v11, s0, v4
	v_add_u32_e32 v8, v9, v8
	v_add_u32_e32 v8, v8, v10
	v_mul_lo_u32 v12, v4, v8
	v_mul_hi_u32 v13, v4, v11
	v_mul_hi_u32 v14, v4, v8
	v_mul_hi_u32 v10, v7, v11
	v_mul_lo_u32 v11, v7, v11
	v_mul_hi_u32 v9, v7, v8
	v_add_co_u32_e32 v12, vcc, v13, v12
	v_addc_co_u32_e32 v13, vcc, 0, v14, vcc
	v_mul_lo_u32 v8, v7, v8
	v_add_co_u32_e32 v11, vcc, v12, v11
	v_addc_co_u32_e32 v10, vcc, v13, v10, vcc
	v_addc_co_u32_e32 v9, vcc, 0, v9, vcc
	v_add_co_u32_e32 v8, vcc, v10, v8
	v_addc_co_u32_e32 v9, vcc, 0, v9, vcc
	v_add_co_u32_e32 v4, vcc, v4, v8
	v_addc_co_u32_e32 v9, vcc, v7, v9, vcc
	v_mad_u64_u32 v[7:8], s[0:1], v5, v9, 0
	v_mul_hi_u32 v10, v5, v4
	v_add_co_u32_e32 v11, vcc, v10, v7
	v_addc_co_u32_e32 v12, vcc, 0, v8, vcc
	v_mad_u64_u32 v[7:8], s[0:1], v6, v4, 0
	v_mad_u64_u32 v[9:10], s[0:1], v6, v9, 0
	v_add_co_u32_e32 v4, vcc, v11, v7
	v_addc_co_u32_e32 v4, vcc, v12, v8, vcc
	v_addc_co_u32_e32 v7, vcc, 0, v10, vcc
	v_add_co_u32_e32 v4, vcc, v4, v9
	v_addc_co_u32_e32 v9, vcc, 0, v7, vcc
	v_mul_lo_u32 v10, s25, v4
	v_mul_lo_u32 v11, s24, v9
	v_mad_u64_u32 v[7:8], s[0:1], s24, v4, 0
	v_add3_u32 v8, v8, v11, v10
	v_sub_u32_e32 v10, v6, v8
	v_mov_b32_e32 v11, s25
	v_sub_co_u32_e32 v7, vcc, v5, v7
	v_subb_co_u32_e64 v10, s[0:1], v10, v11, vcc
	v_subrev_co_u32_e64 v11, s[0:1], s24, v7
	v_subbrev_co_u32_e64 v10, s[0:1], 0, v10, s[0:1]
	v_cmp_le_u32_e64 s[0:1], s25, v10
	v_cndmask_b32_e64 v12, 0, -1, s[0:1]
	v_cmp_le_u32_e64 s[0:1], s24, v11
	v_cndmask_b32_e64 v11, 0, -1, s[0:1]
	v_cmp_eq_u32_e64 s[0:1], s25, v10
	v_cndmask_b32_e64 v10, v12, v11, s[0:1]
	v_add_co_u32_e64 v11, s[0:1], 2, v4
	v_addc_co_u32_e64 v12, s[0:1], 0, v9, s[0:1]
	v_add_co_u32_e64 v13, s[0:1], 1, v4
	v_addc_co_u32_e64 v14, s[0:1], 0, v9, s[0:1]
	v_subb_co_u32_e32 v8, vcc, v6, v8, vcc
	v_cmp_ne_u32_e64 s[0:1], 0, v10
	v_cmp_le_u32_e32 vcc, s25, v8
	v_cndmask_b32_e64 v10, v14, v12, s[0:1]
	v_cndmask_b32_e64 v12, 0, -1, vcc
	v_cmp_le_u32_e32 vcc, s24, v7
	v_cndmask_b32_e64 v7, 0, -1, vcc
	v_cmp_eq_u32_e32 vcc, s25, v8
	v_cndmask_b32_e32 v7, v12, v7, vcc
	v_cmp_ne_u32_e32 vcc, 0, v7
	v_cndmask_b32_e64 v7, v13, v11, s[0:1]
	v_cndmask_b32_e32 v59, v9, v10, vcc
	v_cndmask_b32_e32 v58, v4, v7, vcc
.LBB0_4:                                ;   in Loop: Header=BB0_2 Depth=1
	s_andn2_saveexec_b64 s[0:1], s[26:27]
	s_cbranch_execz .LBB0_6
; %bb.5:                                ;   in Loop: Header=BB0_2 Depth=1
	v_cvt_f32_u32_e32 v4, s24
	s_sub_i32 s26, 0, s24
	v_mov_b32_e32 v59, v3
	v_rcp_iflag_f32_e32 v4, v4
	v_mul_f32_e32 v4, 0x4f7ffffe, v4
	v_cvt_u32_f32_e32 v4, v4
	v_mul_lo_u32 v7, s26, v4
	v_mul_hi_u32 v7, v4, v7
	v_add_u32_e32 v4, v4, v7
	v_mul_hi_u32 v4, v5, v4
	v_mul_lo_u32 v7, v4, s24
	v_add_u32_e32 v8, 1, v4
	v_sub_u32_e32 v7, v5, v7
	v_subrev_u32_e32 v9, s24, v7
	v_cmp_le_u32_e32 vcc, s24, v7
	v_cndmask_b32_e32 v7, v7, v9, vcc
	v_cndmask_b32_e32 v4, v4, v8, vcc
	v_add_u32_e32 v8, 1, v4
	v_cmp_le_u32_e32 vcc, s24, v7
	v_cndmask_b32_e32 v58, v4, v8, vcc
.LBB0_6:                                ;   in Loop: Header=BB0_2 Depth=1
	s_or_b64 exec, exec, s[0:1]
	v_mul_lo_u32 v4, v59, s24
	v_mul_lo_u32 v9, v58, s25
	v_mad_u64_u32 v[7:8], s[0:1], v58, s24, 0
	s_load_dwordx2 s[0:1], s[6:7], 0x0
	s_load_dwordx2 s[24:25], s[2:3], 0x0
	v_add3_u32 v4, v8, v9, v4
	v_sub_co_u32_e32 v5, vcc, v5, v7
	v_subb_co_u32_e32 v4, vcc, v6, v4, vcc
	s_waitcnt lgkmcnt(0)
	v_mul_lo_u32 v6, s0, v4
	v_mul_lo_u32 v7, s1, v5
	v_mad_u64_u32 v[1:2], s[0:1], s0, v5, v[1:2]
	v_mul_lo_u32 v4, s24, v4
	v_mul_lo_u32 v8, s25, v5
	v_mad_u64_u32 v[56:57], s[0:1], s24, v5, v[56:57]
	s_add_u32 s22, s22, 1
	s_addc_u32 s23, s23, 0
	s_add_u32 s2, s2, 8
	v_add3_u32 v57, v8, v57, v4
	s_addc_u32 s3, s3, 0
	v_mov_b32_e32 v4, s14
	s_add_u32 s6, s6, 8
	v_mov_b32_e32 v5, s15
	s_addc_u32 s7, s7, 0
	v_cmp_ge_u64_e32 vcc, s[22:23], v[4:5]
	s_add_u32 s20, s20, 8
	v_add3_u32 v2, v7, v2, v6
	s_addc_u32 s21, s21, 0
	s_cbranch_vccnz .LBB0_9
; %bb.7:                                ;   in Loop: Header=BB0_2 Depth=1
	v_mov_b32_e32 v5, v58
	v_mov_b32_e32 v6, v59
	s_branch .LBB0_2
.LBB0_8:
	v_mov_b32_e32 v57, v2
	v_mov_b32_e32 v59, v6
	;; [unrolled: 1-line block ×4, first 2 shown]
.LBB0_9:
	s_load_dwordx2 s[4:5], s[4:5], 0x28
	s_lshl_b64 s[6:7], s[14:15], 3
	s_add_u32 s2, s18, s6
	s_addc_u32 s3, s19, s7
                                        ; implicit-def: $vgpr60
	s_waitcnt lgkmcnt(0)
	v_cmp_gt_u64_e64 s[0:1], s[4:5], v[58:59]
	v_cmp_le_u64_e32 vcc, s[4:5], v[58:59]
	s_and_saveexec_b64 s[4:5], vcc
	s_xor_b64 s[4:5], exec, s[4:5]
; %bb.10:
	s_mov_b32 s14, 0x4104105
	v_mul_hi_u32 v1, v0, s14
	v_mul_u32_u24_e32 v1, 63, v1
	v_sub_u32_e32 v60, v0, v1
                                        ; implicit-def: $vgpr0
                                        ; implicit-def: $vgpr1_vgpr2
; %bb.11:
	s_or_saveexec_b64 s[4:5], s[4:5]
	s_load_dwordx2 s[2:3], s[2:3], 0x0
	s_xor_b64 exec, exec, s[4:5]
	s_cbranch_execz .LBB0_15
; %bb.12:
	s_add_u32 s6, s16, s6
	s_addc_u32 s7, s17, s7
	s_load_dwordx2 s[6:7], s[6:7], 0x0
	s_mov_b32 s14, 0x4104105
	v_mul_hi_u32 v5, v0, s14
	v_lshlrev_b64 v[1:2], 4, v[1:2]
	s_waitcnt lgkmcnt(0)
	v_mul_lo_u32 v6, s7, v58
	v_mul_lo_u32 v7, s6, v59
	v_mad_u64_u32 v[3:4], s[6:7], s6, v58, 0
	v_mul_u32_u24_e32 v5, 63, v5
	v_sub_u32_e32 v60, v0, v5
	v_add3_u32 v4, v4, v7, v6
	v_lshlrev_b64 v[3:4], 4, v[3:4]
	v_mov_b32_e32 v0, s9
	v_add_co_u32_e32 v3, vcc, s8, v3
	v_addc_co_u32_e32 v0, vcc, v0, v4, vcc
	v_add_co_u32_e32 v1, vcc, v3, v1
	v_addc_co_u32_e32 v0, vcc, v0, v2, vcc
	v_lshlrev_b32_e32 v54, 4, v60
	v_add_co_u32_e32 v34, vcc, v1, v54
	v_addc_co_u32_e32 v35, vcc, 0, v0, vcc
	s_movk_i32 s6, 0x1000
	v_add_co_u32_e32 v50, vcc, s6, v34
	v_addc_co_u32_e32 v51, vcc, 0, v35, vcc
	v_add_co_u32_e32 v52, vcc, 0x2000, v34
	global_load_dwordx4 v[2:5], v[34:35], off
	global_load_dwordx4 v[6:9], v[34:35], off offset:1008
	global_load_dwordx4 v[10:13], v[34:35], off offset:2016
	;; [unrolled: 1-line block ×7, first 2 shown]
	v_addc_co_u32_e32 v53, vcc, 0, v35, vcc
	global_load_dwordx4 v[34:37], v[50:51], off offset:3968
	global_load_dwordx4 v[38:41], v[52:53], off offset:880
	;; [unrolled: 1-line block ×4, first 2 shown]
	v_add_u32_e32 v50, 0, v54
	v_cmp_eq_u32_e32 vcc, 62, v60
	s_waitcnt vmcnt(11)
	ds_write_b128 v50, v[2:5]
	s_waitcnt vmcnt(10)
	ds_write_b128 v50, v[6:9] offset:1008
	s_waitcnt vmcnt(9)
	ds_write_b128 v50, v[10:13] offset:2016
	;; [unrolled: 2-line block ×11, first 2 shown]
	s_and_saveexec_b64 s[6:7], vcc
	s_cbranch_execz .LBB0_14
; %bb.13:
	v_add_co_u32_e32 v1, vcc, 0x2000, v1
	v_addc_co_u32_e32 v2, vcc, 0, v0, vcc
	global_load_dwordx4 v[0:3], v[1:2], off offset:3904
	v_mov_b32_e32 v4, 0
	v_mov_b32_e32 v60, 62
	s_waitcnt vmcnt(0)
	ds_write_b128 v4, v[0:3] offset:12096
.LBB0_14:
	s_or_b64 exec, exec, s[6:7]
.LBB0_15:
	s_or_b64 exec, exec, s[4:5]
	v_lshlrev_b32_e32 v0, 4, v60
	v_add_u32_e32 v62, 0, v0
	s_waitcnt lgkmcnt(0)
	; wave barrier
	s_waitcnt lgkmcnt(0)
	v_sub_u32_e32 v10, 0, v0
	ds_read_b64 v[6:7], v62
	ds_read_b64 v[8:9], v10 offset:12096
	s_add_u32 s6, s12, 0x2f20
	s_addc_u32 s7, s13, 0
	v_cmp_ne_u32_e32 vcc, 0, v60
                                        ; implicit-def: $vgpr4_vgpr5
	s_waitcnt lgkmcnt(0)
	v_add_f64 v[0:1], v[6:7], v[8:9]
	v_add_f64 v[2:3], v[6:7], -v[8:9]
	s_and_saveexec_b64 s[4:5], vcc
	s_xor_b64 s[4:5], exec, s[4:5]
	s_cbranch_execz .LBB0_17
; %bb.16:
	v_mov_b32_e32 v61, 0
	v_lshlrev_b64 v[0:1], 4, v[60:61]
	v_mov_b32_e32 v2, s7
	v_add_co_u32_e32 v0, vcc, s6, v0
	v_addc_co_u32_e32 v1, vcc, v2, v1, vcc
	global_load_dwordx4 v[2:5], v[0:1], off
	ds_read_b64 v[0:1], v10 offset:12104
	ds_read_b64 v[11:12], v62 offset:8
	v_add_f64 v[13:14], v[6:7], v[8:9]
	v_add_f64 v[8:9], v[6:7], -v[8:9]
	s_waitcnt lgkmcnt(0)
	v_add_f64 v[15:16], v[0:1], v[11:12]
	v_add_f64 v[0:1], v[11:12], -v[0:1]
	s_waitcnt vmcnt(0)
	v_fma_f64 v[6:7], -v[8:9], v[4:5], v[13:14]
	v_fma_f64 v[11:12], v[15:16], v[4:5], -v[0:1]
	v_fma_f64 v[13:14], v[8:9], v[4:5], v[13:14]
	v_fma_f64 v[17:18], v[15:16], v[4:5], v[0:1]
	;; [unrolled: 1-line block ×4, first 2 shown]
	v_fma_f64 v[0:1], -v[15:16], v[2:3], v[13:14]
	v_fma_f64 v[2:3], v[8:9], v[2:3], v[17:18]
	ds_write_b128 v10, v[4:7] offset:12096
	v_mov_b32_e32 v4, v60
	v_mov_b32_e32 v5, v61
.LBB0_17:
	s_andn2_saveexec_b64 s[4:5], s[4:5]
	s_cbranch_execz .LBB0_19
; %bb.18:
	v_mov_b32_e32 v8, 0
	ds_read_b128 v[4:7], v8 offset:6048
	s_waitcnt lgkmcnt(0)
	v_add_f64 v[11:12], v[4:5], v[4:5]
	v_mul_f64 v[13:14], v[6:7], -2.0
	v_mov_b32_e32 v4, 0
	v_mov_b32_e32 v5, 0
	ds_write_b128 v8, v[11:14] offset:6048
.LBB0_19:
	s_or_b64 exec, exec, s[4:5]
	v_lshlrev_b64 v[4:5], 4, v[4:5]
	v_mov_b32_e32 v6, s7
	v_add_co_u32_e32 v23, vcc, s6, v4
	v_addc_co_u32_e32 v24, vcc, v6, v5, vcc
	global_load_dwordx4 v[4:7], v[23:24], off offset:1008
	global_load_dwordx4 v[11:14], v[23:24], off offset:2016
	ds_write_b128 v62, v[0:3]
	ds_read_b128 v[0:3], v62 offset:1008
	ds_read_b128 v[15:18], v10 offset:11088
	global_load_dwordx4 v[19:22], v[23:24], off offset:3024
	s_movk_i32 s4, 0x1000
	v_add_u32_e32 v61, 63, v60
	s_movk_i32 s5, 0x1fc
	s_waitcnt lgkmcnt(0)
	v_add_f64 v[8:9], v[0:1], v[15:16]
	v_add_f64 v[25:26], v[17:18], v[2:3]
	v_add_f64 v[15:16], v[0:1], -v[15:16]
	v_add_f64 v[0:1], v[2:3], -v[17:18]
	s_movk_i32 s6, 0x3fc
	s_movk_i32 s7, 0x2fc
	v_and_b32_e32 v65, 3, v60
	s_movk_i32 s8, 0xab
	s_waitcnt vmcnt(2)
	v_fma_f64 v[2:3], v[15:16], v[6:7], v[8:9]
	v_fma_f64 v[17:18], v[25:26], v[6:7], v[0:1]
	v_fma_f64 v[8:9], -v[15:16], v[6:7], v[8:9]
	v_fma_f64 v[27:28], v[25:26], v[6:7], -v[0:1]
	v_fma_f64 v[0:1], -v[25:26], v[4:5], v[2:3]
	v_fma_f64 v[2:3], v[15:16], v[4:5], v[17:18]
	v_fma_f64 v[6:7], v[25:26], v[4:5], v[8:9]
	;; [unrolled: 1-line block ×3, first 2 shown]
	ds_write_b128 v62, v[0:3] offset:1008
	ds_write_b128 v10, v[6:9] offset:11088
	ds_read_b128 v[0:3], v62 offset:2016
	ds_read_b128 v[4:7], v10 offset:10080
	global_load_dwordx4 v[15:18], v[23:24], off offset:4032
	s_waitcnt lgkmcnt(0)
	v_add_f64 v[8:9], v[0:1], v[4:5]
	v_add_f64 v[25:26], v[6:7], v[2:3]
	v_add_f64 v[27:28], v[0:1], -v[4:5]
	v_add_f64 v[0:1], v[2:3], -v[6:7]
	s_waitcnt vmcnt(2)
	v_fma_f64 v[2:3], v[27:28], v[13:14], v[8:9]
	v_fma_f64 v[4:5], v[25:26], v[13:14], v[0:1]
	v_fma_f64 v[6:7], -v[27:28], v[13:14], v[8:9]
	v_fma_f64 v[8:9], v[25:26], v[13:14], -v[0:1]
	v_fma_f64 v[0:1], -v[25:26], v[11:12], v[2:3]
	v_fma_f64 v[2:3], v[27:28], v[11:12], v[4:5]
	v_fma_f64 v[4:5], v[25:26], v[11:12], v[6:7]
	;; [unrolled: 1-line block ×3, first 2 shown]
	v_add_co_u32_e32 v8, vcc, s4, v23
	ds_write_b128 v62, v[0:3] offset:2016
	ds_write_b128 v10, v[4:7] offset:10080
	v_addc_co_u32_e32 v9, vcc, 0, v24, vcc
	ds_read_b128 v[0:3], v62 offset:3024
	ds_read_b128 v[4:7], v10 offset:9072
	global_load_dwordx4 v[11:14], v[8:9], off offset:944
	s_movk_i32 s4, 0x7c
	v_cmp_gt_u32_e32 vcc, 36, v60
	s_waitcnt lgkmcnt(0)
	v_add_f64 v[8:9], v[0:1], v[4:5]
	v_add_f64 v[23:24], v[6:7], v[2:3]
	v_add_f64 v[25:26], v[0:1], -v[4:5]
	v_add_f64 v[0:1], v[2:3], -v[6:7]
	s_waitcnt vmcnt(2)
	v_fma_f64 v[2:3], v[25:26], v[21:22], v[8:9]
	v_fma_f64 v[4:5], v[23:24], v[21:22], v[0:1]
	v_fma_f64 v[6:7], -v[25:26], v[21:22], v[8:9]
	v_fma_f64 v[8:9], v[23:24], v[21:22], -v[0:1]
	v_fma_f64 v[0:1], -v[23:24], v[19:20], v[2:3]
	v_fma_f64 v[2:3], v[25:26], v[19:20], v[4:5]
	v_fma_f64 v[4:5], v[23:24], v[19:20], v[6:7]
	;; [unrolled: 1-line block ×3, first 2 shown]
	ds_write_b128 v62, v[0:3] offset:3024
	ds_write_b128 v10, v[4:7] offset:9072
	ds_read_b128 v[0:3], v62 offset:4032
	ds_read_b128 v[4:7], v10 offset:8064
	s_waitcnt lgkmcnt(0)
	v_add_f64 v[8:9], v[0:1], v[4:5]
	v_add_f64 v[19:20], v[6:7], v[2:3]
	v_add_f64 v[21:22], v[0:1], -v[4:5]
	v_add_f64 v[0:1], v[2:3], -v[6:7]
	s_waitcnt vmcnt(1)
	v_fma_f64 v[2:3], v[21:22], v[17:18], v[8:9]
	v_fma_f64 v[4:5], v[19:20], v[17:18], v[0:1]
	v_fma_f64 v[6:7], -v[21:22], v[17:18], v[8:9]
	v_fma_f64 v[8:9], v[19:20], v[17:18], -v[0:1]
	v_fma_f64 v[0:1], -v[19:20], v[15:16], v[2:3]
	v_fma_f64 v[2:3], v[21:22], v[15:16], v[4:5]
	v_fma_f64 v[4:5], v[19:20], v[15:16], v[6:7]
	;; [unrolled: 1-line block ×3, first 2 shown]
	ds_write_b128 v62, v[0:3] offset:4032
	ds_write_b128 v10, v[4:7] offset:8064
	ds_read_b128 v[0:3], v62 offset:5040
	ds_read_b128 v[4:7], v10 offset:7056
	s_waitcnt lgkmcnt(0)
	v_add_f64 v[8:9], v[0:1], v[4:5]
	v_add_f64 v[15:16], v[6:7], v[2:3]
	v_add_f64 v[17:18], v[0:1], -v[4:5]
	v_add_f64 v[0:1], v[2:3], -v[6:7]
	s_waitcnt vmcnt(0)
	v_fma_f64 v[2:3], v[17:18], v[13:14], v[8:9]
	v_fma_f64 v[4:5], v[15:16], v[13:14], v[0:1]
	v_fma_f64 v[6:7], -v[17:18], v[13:14], v[8:9]
	v_fma_f64 v[8:9], v[15:16], v[13:14], -v[0:1]
	v_fma_f64 v[0:1], -v[15:16], v[11:12], v[2:3]
	v_fma_f64 v[2:3], v[17:18], v[11:12], v[4:5]
	v_fma_f64 v[4:5], v[15:16], v[11:12], v[6:7]
	;; [unrolled: 1-line block ×3, first 2 shown]
	ds_write_b128 v62, v[0:3] offset:5040
	ds_write_b128 v10, v[4:7] offset:7056
	s_waitcnt lgkmcnt(0)
	; wave barrier
	s_waitcnt lgkmcnt(0)
	s_waitcnt lgkmcnt(0)
	; wave barrier
	s_waitcnt lgkmcnt(0)
	ds_read_b128 v[8:11], v62 offset:6048
	ds_read_b128 v[20:23], v62
	ds_read_b128 v[24:27], v62 offset:1008
	ds_read_b128 v[12:15], v62 offset:7056
	;; [unrolled: 1-line block ×9, first 2 shown]
	s_waitcnt lgkmcnt(9)
	v_add_f64 v[44:45], v[20:21], -v[8:9]
	v_add_f64 v[46:47], v[22:23], -v[10:11]
	s_waitcnt lgkmcnt(7)
	v_add_f64 v[48:49], v[24:25], -v[12:13]
	v_add_f64 v[50:51], v[26:27], -v[14:15]
	ds_read_b128 v[12:15], v62 offset:11088
	s_waitcnt lgkmcnt(5)
	v_add_f64 v[52:53], v[28:29], -v[16:17]
	v_add_f64 v[54:55], v[30:31], -v[18:19]
	s_waitcnt lgkmcnt(4)
	v_add_f64 v[16:17], v[32:33], -v[36:37]
	v_add_f64 v[18:19], v[34:35], -v[38:39]
	;; [unrolled: 3-line block ×4, first 2 shown]
	v_fma_f64 v[20:21], v[20:21], 2.0, -v[44:45]
	v_fma_f64 v[22:23], v[22:23], 2.0, -v[46:47]
	v_fma_f64 v[36:37], v[24:25], 2.0, -v[48:49]
	v_fma_f64 v[38:39], v[26:27], 2.0, -v[50:51]
	v_fma_f64 v[28:29], v[28:29], 2.0, -v[52:53]
	v_fma_f64 v[30:31], v[30:31], 2.0, -v[54:55]
	v_add_u32_e32 v25, 0x7e, v60
	v_fma_f64 v[32:33], v[32:33], 2.0, -v[16:17]
	v_fma_f64 v[34:35], v[34:35], 2.0, -v[18:19]
	v_lshl_add_u32 v40, v60, 4, v62
	v_add_u32_e32 v24, 0xbd, v60
	v_add_u32_e32 v27, 0xfc, v60
	v_lshl_add_u32 v42, v25, 5, 0
	v_fma_f64 v[4:5], v[4:5], 2.0, -v[8:9]
	v_fma_f64 v[6:7], v[6:7], 2.0, -v[10:11]
	s_waitcnt lgkmcnt(0)
	; wave barrier
	ds_write_b128 v40, v[44:47] offset:16
	v_lshl_add_u32 v41, v61, 5, 0
	v_add_u32_e32 v26, 0x13b, v60
	v_lshl_add_u32 v43, v24, 5, 0
	v_lshl_add_u32 v44, v27, 5, 0
	ds_write_b128 v42, v[52:55] offset:16
	v_and_b32_e32 v52, 1, v24
	v_fma_f64 v[0:1], v[0:1], 2.0, -v[12:13]
	v_fma_f64 v[2:3], v[2:3], 2.0, -v[14:15]
	v_and_b32_e32 v53, 1, v60
	ds_write_b128 v41, v[48:51] offset:16
	v_lshl_add_u32 v45, v26, 5, 0
	v_lshlrev_b32_e32 v46, 4, v52
	ds_write_b128 v43, v[16:19] offset:16
	ds_write_b128 v44, v[8:11] offset:16
	;; [unrolled: 1-line block ×3, first 2 shown]
	ds_write_b128 v40, v[20:23]
	ds_write_b128 v41, v[36:39]
	;; [unrolled: 1-line block ×6, first 2 shown]
	v_lshlrev_b32_e32 v4, 4, v53
	s_waitcnt lgkmcnt(0)
	; wave barrier
	s_waitcnt lgkmcnt(0)
	global_load_dwordx4 v[0:3], v46, s[12:13]
	v_and_b32_e32 v54, 1, v26
	global_load_dwordx4 v[4:7], v4, s[12:13]
	v_lshlrev_b32_e32 v12, 4, v54
	global_load_dwordx2 v[32:33], v12, s[12:13] offset:8
	global_load_dwordx4 v[8:11], v12, s[12:13]
	v_and_b32_e32 v55, 1, v61
	v_lshlrev_b32_e32 v12, 4, v55
	global_load_dwordx2 v[34:35], v12, s[12:13]
	ds_read_b128 v[12:15], v62 offset:9072
	ds_read_b128 v[16:19], v62 offset:6048
	ds_read_b128 v[20:23], v62 offset:8064
	ds_read_b128 v[28:31], v62 offset:10080
	v_lshlrev_b32_e32 v27, 1, v27
	v_lshlrev_b32_e32 v26, 1, v26
	v_and_or_b32 v27, v27, s6, v53
	v_and_or_b32 v26, v26, s7, v54
	v_lshl_add_u32 v27, v27, 4, 0
	v_lshl_add_u32 v26, v26, 4, 0
	s_mov_b32 s7, 0xbfebb67a
	s_waitcnt vmcnt(4) lgkmcnt(3)
	v_mul_f64 v[36:37], v[14:15], v[2:3]
	v_mul_f64 v[2:3], v[12:13], v[2:3]
	s_waitcnt vmcnt(3) lgkmcnt(2)
	v_mul_f64 v[38:39], v[18:19], v[6:7]
	v_mul_f64 v[40:41], v[16:17], v[6:7]
	v_fma_f64 v[36:37], v[12:13], v[0:1], -v[36:37]
	v_fma_f64 v[42:43], v[14:15], v[0:1], v[2:3]
	s_waitcnt lgkmcnt(1)
	v_mul_f64 v[12:13], v[22:23], v[6:7]
	v_mul_f64 v[14:15], v[20:21], v[6:7]
	v_fma_f64 v[16:17], v[16:17], v[4:5], -v[38:39]
	s_waitcnt lgkmcnt(0)
	v_mul_f64 v[38:39], v[30:31], v[6:7]
	v_mul_f64 v[6:7], v[28:29], v[6:7]
	ds_read_b128 v[0:3], v62 offset:11088
	v_fma_f64 v[18:19], v[18:19], v[4:5], v[40:41]
	v_fma_f64 v[40:41], v[20:21], v[4:5], -v[12:13]
	v_fma_f64 v[44:45], v[22:23], v[4:5], v[14:15]
	ds_read_b128 v[12:15], v62
	v_fma_f64 v[38:39], v[28:29], v[4:5], -v[38:39]
	v_fma_f64 v[46:47], v[30:31], v[4:5], v[6:7]
	ds_read_b128 v[4:7], v62 offset:7056
	s_waitcnt vmcnt(2) lgkmcnt(2)
	v_mul_f64 v[20:21], v[2:3], v[32:33]
	v_mul_f64 v[22:23], v[0:1], v[32:33]
	s_waitcnt vmcnt(1) lgkmcnt(0)
	v_mul_f64 v[28:29], v[6:7], v[10:11]
	v_fma_f64 v[48:49], v[0:1], v[8:9], -v[20:21]
	v_fma_f64 v[50:51], v[2:3], v[8:9], v[22:23]
	v_lshlrev_b32_e32 v8, 1, v60
	v_mul_f64 v[20:21], v[4:5], v[10:11]
	v_and_or_b32 v8, v8, s4, v53
	v_lshl_add_u32 v63, v8, 4, 0
	ds_read_b128 v[8:11], v62 offset:1008
	v_add_f64 v[0:1], v[12:13], -v[16:17]
	v_add_f64 v[2:3], v[14:15], -v[18:19]
	s_waitcnt vmcnt(0)
	v_fma_f64 v[32:33], v[4:5], v[34:35], -v[28:29]
	s_movk_i32 s4, 0xfc
	v_fma_f64 v[34:35], v[6:7], v[34:35], v[20:21]
	v_fma_f64 v[4:5], v[12:13], 2.0, -v[0:1]
	v_fma_f64 v[6:7], v[14:15], 2.0, -v[2:3]
	ds_read_b128 v[12:15], v62 offset:2016
	ds_read_b128 v[16:19], v62 offset:3024
	;; [unrolled: 1-line block ×4, first 2 shown]
	s_waitcnt lgkmcnt(0)
	; wave barrier
	s_waitcnt lgkmcnt(0)
	ds_write_b128 v63, v[0:3] offset:32
	ds_write_b128 v63, v[4:7]
	v_add_f64 v[0:1], v[8:9], -v[32:33]
	v_add_f64 v[2:3], v[10:11], -v[34:35]
	;; [unrolled: 1-line block ×7, first 2 shown]
	v_lshlrev_b32_e32 v46, 1, v25
	v_fma_f64 v[4:5], v[8:9], 2.0, -v[0:1]
	v_fma_f64 v[6:7], v[10:11], 2.0, -v[2:3]
	v_add_f64 v[8:9], v[12:13], -v[40:41]
	v_add_f64 v[10:11], v[14:15], -v[44:45]
	;; [unrolled: 1-line block ×3, first 2 shown]
	v_fma_f64 v[16:17], v[16:17], 2.0, -v[32:33]
	v_fma_f64 v[18:19], v[18:19], 2.0, -v[34:35]
	v_lshlrev_b32_e32 v44, 1, v61
	v_fma_f64 v[20:21], v[20:21], 2.0, -v[36:37]
	v_fma_f64 v[22:23], v[22:23], 2.0, -v[38:39]
	;; [unrolled: 1-line block ×4, first 2 shown]
	v_and_or_b32 v44, v44, s4, v55
	v_lshlrev_b32_e32 v45, 1, v24
	v_and_or_b32 v45, v45, s5, v52
	v_and_or_b32 v46, v46, s5, v53
	v_lshlrev_b32_e32 v47, 5, v65
	v_lshl_add_u32 v44, v44, 4, 0
	v_fma_f64 v[28:29], v[28:29], 2.0, -v[40:41]
	v_fma_f64 v[30:31], v[30:31], 2.0, -v[42:43]
	v_lshl_add_u32 v46, v46, 4, 0
	v_lshl_add_u32 v45, v45, 4, 0
	ds_write_b128 v44, v[4:7]
	ds_write_b128 v44, v[0:3] offset:32
	ds_write_b128 v46, v[12:15]
	ds_write_b128 v46, v[8:11] offset:32
	;; [unrolled: 2-line block ×5, first 2 shown]
	s_waitcnt lgkmcnt(0)
	; wave barrier
	s_waitcnt lgkmcnt(0)
	global_load_dwordx4 v[0:3], v47, s[12:13] offset:32
	global_load_dwordx4 v[4:7], v47, s[12:13] offset:48
	v_and_b32_e32 v13, 3, v61
	v_lshlrev_b32_e32 v12, 5, v13
	global_load_dwordx4 v[8:11], v12, s[12:13] offset:32
	global_load_dwordx4 v[16:19], v12, s[12:13] offset:48
	v_and_b32_e32 v14, 3, v25
	v_lshlrev_b32_e32 v12, 5, v14
	;; [unrolled: 4-line block ×3, first 2 shown]
	ds_read_b128 v[30:33], v62 offset:4032
	ds_read_b128 v[34:37], v62 offset:8064
	global_load_dwordx4 v[38:41], v12, s[12:13] offset:32
	s_mov_b32 s4, 0xe8584caa
	s_mov_b32 s5, 0x3febb67a
	;; [unrolled: 1-line block ×3, first 2 shown]
	s_waitcnt vmcnt(6) lgkmcnt(1)
	v_mul_f64 v[42:43], v[32:33], v[2:3]
	v_mul_f64 v[2:3], v[30:31], v[2:3]
	s_waitcnt vmcnt(5) lgkmcnt(0)
	v_mul_f64 v[44:45], v[36:37], v[6:7]
	v_mul_f64 v[6:7], v[34:35], v[6:7]
	v_fma_f64 v[42:43], v[30:31], v[0:1], -v[42:43]
	v_fma_f64 v[46:47], v[32:33], v[0:1], v[2:3]
	global_load_dwordx4 v[30:33], v12, s[12:13] offset:48
	ds_read_b128 v[0:3], v62 offset:5040
	v_fma_f64 v[34:35], v[34:35], v[4:5], -v[44:45]
	v_fma_f64 v[36:37], v[36:37], v[4:5], v[6:7]
	v_lshrrev_b32_e32 v12, 2, v60
	v_mul_u32_u24_e32 v12, 12, v12
	s_waitcnt vmcnt(5) lgkmcnt(0)
	v_mul_f64 v[4:5], v[2:3], v[10:11]
	v_mul_f64 v[6:7], v[0:1], v[10:11]
	v_or_b32_e32 v12, v12, v65
	v_lshl_add_u32 v12, v12, 4, 0
	v_fma_f64 v[44:45], v[0:1], v[8:9], -v[4:5]
	v_fma_f64 v[48:49], v[2:3], v[8:9], v[6:7]
	ds_read_b128 v[0:3], v62 offset:9072
	s_waitcnt vmcnt(4) lgkmcnt(0)
	v_mul_f64 v[4:5], v[2:3], v[18:19]
	v_mul_f64 v[6:7], v[0:1], v[18:19]
	v_fma_f64 v[50:51], v[0:1], v[16:17], -v[4:5]
	v_fma_f64 v[52:53], v[2:3], v[16:17], v[6:7]
	ds_read_b128 v[0:3], v62 offset:6048
	s_waitcnt vmcnt(3) lgkmcnt(0)
	v_mul_f64 v[4:5], v[2:3], v[22:23]
	v_mul_f64 v[6:7], v[0:1], v[22:23]
	v_add_f64 v[22:23], v[46:47], v[36:37]
	v_fma_f64 v[8:9], v[0:1], v[20:21], -v[4:5]
	v_fma_f64 v[54:55], v[2:3], v[20:21], v[6:7]
	ds_read_b128 v[0:3], v62 offset:10080
	v_add_f64 v[20:21], v[42:43], v[34:35]
	s_waitcnt vmcnt(2) lgkmcnt(0)
	v_mul_f64 v[4:5], v[2:3], v[28:29]
	v_mul_f64 v[6:7], v[0:1], v[28:29]
	v_fma_f64 v[10:11], v[0:1], v[26:27], -v[4:5]
	v_fma_f64 v[63:64], v[2:3], v[26:27], v[6:7]
	ds_read_b128 v[0:3], v62 offset:7056
	s_waitcnt vmcnt(1) lgkmcnt(0)
	v_mul_f64 v[4:5], v[2:3], v[40:41]
	v_mul_f64 v[6:7], v[0:1], v[40:41]
	v_fma_f64 v[4:5], v[0:1], v[38:39], -v[4:5]
	v_fma_f64 v[6:7], v[2:3], v[38:39], v[6:7]
	ds_read_b128 v[0:3], v62 offset:11088
	s_waitcnt vmcnt(0) lgkmcnt(0)
	v_mul_f64 v[16:17], v[2:3], v[32:33]
	v_mul_f64 v[18:19], v[0:1], v[32:33]
	v_add_f64 v[32:33], v[42:43], -v[34:35]
	v_fma_f64 v[0:1], v[0:1], v[30:31], -v[16:17]
	v_fma_f64 v[2:3], v[2:3], v[30:31], v[18:19]
	ds_read_b128 v[16:19], v62
	s_waitcnt lgkmcnt(0)
	v_add_f64 v[26:27], v[18:19], v[46:47]
	v_fma_f64 v[28:29], v[20:21], -0.5, v[16:17]
	v_add_f64 v[16:17], v[16:17], v[42:43]
	v_fma_f64 v[30:31], v[22:23], -0.5, v[18:19]
	v_add_f64 v[22:23], v[46:47], -v[36:37]
	v_add_f64 v[42:43], v[48:49], -v[52:53]
	v_add_f64 v[46:47], v[4:5], v[0:1]
	v_add_f64 v[18:19], v[26:27], v[36:37]
	v_add_f64 v[16:17], v[16:17], v[34:35]
	v_fma_f64 v[20:21], v[22:23], s[4:5], v[28:29]
	v_fma_f64 v[26:27], v[22:23], s[6:7], v[28:29]
	;; [unrolled: 1-line block ×4, first 2 shown]
	ds_read_b128 v[30:33], v62 offset:1008
	ds_read_b128 v[34:37], v62 offset:2016
	;; [unrolled: 1-line block ×3, first 2 shown]
	s_waitcnt lgkmcnt(0)
	; wave barrier
	s_waitcnt lgkmcnt(0)
	ds_write_b128 v12, v[16:19]
	ds_write_b128 v12, v[20:23] offset:64
	v_add_f64 v[16:17], v[44:45], v[50:51]
	v_add_f64 v[18:19], v[48:49], v[52:53]
	ds_write_b128 v12, v[26:29] offset:128
	v_add_f64 v[20:21], v[32:33], v[48:49]
	v_add_f64 v[22:23], v[30:31], v[44:45]
	v_mov_b32_e32 v12, 5
	v_fma_f64 v[26:27], v[16:17], -0.5, v[30:31]
	v_add_f64 v[16:17], v[8:9], v[10:11]
	v_fma_f64 v[28:29], v[18:19], -0.5, v[32:33]
	v_add_f64 v[18:19], v[54:55], v[63:64]
	;; [unrolled: 2-line block ×4, first 2 shown]
	v_add_f64 v[18:19], v[20:21], v[52:53]
	v_lshrrev_b32_e32 v20, 2, v61
	v_mul_u32_u24_e32 v20, 12, v20
	v_or_b32_e32 v48, v20, v13
	v_lshrrev_b32_e32 v13, 2, v25
	v_lshrrev_b32_e32 v52, 2, v24
	v_add_f64 v[20:21], v[34:35], v[10:11]
	v_add_f64 v[34:35], v[6:7], v[2:3]
	;; [unrolled: 1-line block ×3, first 2 shown]
	v_mul_u32_u24_e32 v13, 12, v13
	v_add_f64 v[22:23], v[36:37], v[63:64]
	v_mul_u32_u24_e32 v36, 12, v52
	v_or_b32_e32 v49, v13, v14
	v_add_f64 v[13:14], v[44:45], -v[50:51]
	v_or_b32_e32 v15, v36, v15
	v_mul_lo_u16_sdwa v36, v60, s8 dst_sel:DWORD dst_unused:UNUSED_PAD src0_sel:BYTE_0 src1_sel:DWORD
	v_lshrrev_b16_e32 v75, 11, v36
	v_add_f64 v[36:37], v[8:9], -v[10:11]
	v_add_f64 v[8:9], v[38:39], v[4:5]
	v_add_f64 v[10:11], v[40:41], v[6:7]
	v_add_f64 v[44:45], v[54:55], -v[63:64]
	v_fma_f64 v[38:39], v[46:47], -0.5, v[38:39]
	v_fma_f64 v[46:47], v[34:35], -0.5, v[40:41]
	v_lshl_add_u32 v50, v48, 4, 0
	v_lshl_add_u32 v51, v49, 4, 0
	v_add_f64 v[40:41], v[6:7], -v[2:3]
	v_add_f64 v[48:49], v[4:5], -v[0:1]
	v_fma_f64 v[4:5], v[42:43], s[4:5], v[26:27]
	v_fma_f64 v[6:7], v[13:14], s[6:7], v[28:29]
	v_add_f64 v[0:1], v[8:9], v[0:1]
	v_add_f64 v[2:3], v[10:11], v[2:3]
	v_fma_f64 v[8:9], v[42:43], s[6:7], v[26:27]
	v_fma_f64 v[10:11], v[13:14], s[4:5], v[28:29]
	;; [unrolled: 1-line block ×4, first 2 shown]
	v_mul_lo_u16_e32 v34, 12, v75
	v_fma_f64 v[30:31], v[44:45], s[6:7], v[30:31]
	v_fma_f64 v[32:33], v[36:37], s[4:5], v[32:33]
	v_sub_u16_e32 v76, v60, v34
	v_lshl_add_u32 v15, v15, 4, 0
	v_lshlrev_b32_sdwa v52, v12, v76 dst_sel:DWORD dst_unused:UNUSED_PAD src0_sel:DWORD src1_sel:BYTE_0
	v_fma_f64 v[34:35], v[40:41], s[4:5], v[38:39]
	v_fma_f64 v[36:37], v[48:49], s[6:7], v[46:47]
	;; [unrolled: 1-line block ×4, first 2 shown]
	ds_write_b128 v50, v[16:19]
	ds_write_b128 v50, v[4:7] offset:64
	ds_write_b128 v50, v[8:11] offset:128
	ds_write_b128 v51, v[20:23]
	ds_write_b128 v51, v[26:29] offset:64
	ds_write_b128 v51, v[30:33] offset:128
	;; [unrolled: 3-line block ×3, first 2 shown]
	s_waitcnt lgkmcnt(0)
	; wave barrier
	s_waitcnt lgkmcnt(0)
	global_load_dwordx4 v[6:9], v52, s[12:13] offset:160
	global_load_dwordx4 v[13:16], v52, s[12:13] offset:176
	v_mul_lo_u16_sdwa v0, v61, s8 dst_sel:DWORD dst_unused:UNUSED_PAD src0_sel:BYTE_0 src1_sel:DWORD
	v_lshrrev_b16_e32 v0, 11, v0
	v_mul_lo_u16_e32 v1, 12, v0
	v_sub_u16_e32 v1, v61, v1
	v_lshlrev_b32_sdwa v2, v12, v1 dst_sel:DWORD dst_unused:UNUSED_PAD src0_sel:DWORD src1_sel:BYTE_0
	global_load_dwordx4 v[17:20], v2, s[12:13] offset:160
	global_load_dwordx4 v[26:29], v2, s[12:13] offset:176
	v_mul_lo_u16_sdwa v2, v25, s8 dst_sel:DWORD dst_unused:UNUSED_PAD src0_sel:BYTE_0 src1_sel:DWORD
	v_lshrrev_b16_e32 v3, 11, v2
	v_mul_lo_u16_e32 v2, 12, v3
	v_sub_u16_e32 v2, v25, v2
	v_lshlrev_b32_sdwa v4, v12, v2 dst_sel:DWORD dst_unused:UNUSED_PAD src0_sel:DWORD src1_sel:BYTE_0
	global_load_dwordx4 v[30:33], v4, s[12:13] offset:160
	global_load_dwordx4 v[38:41], v4, s[12:13] offset:176
	ds_read_b128 v[34:37], v62 offset:4032
	v_mul_lo_u16_sdwa v4, v24, s8 dst_sel:DWORD dst_unused:UNUSED_PAD src0_sel:BYTE_0 src1_sel:DWORD
	v_lshrrev_b16_e32 v5, 11, v4
	v_mul_lo_u16_e32 v4, 12, v5
	v_sub_u16_e32 v4, v24, v4
	v_lshlrev_b32_sdwa v23, v12, v4 dst_sel:DWORD dst_unused:UNUSED_PAD src0_sel:DWORD src1_sel:BYTE_0
	v_mul_u32_u24_e32 v0, 0x240, v0
	v_mul_u32_u24_e32 v3, 0x240, v3
	;; [unrolled: 1-line block ×3, first 2 shown]
	s_waitcnt vmcnt(5) lgkmcnt(0)
	v_mul_f64 v[21:22], v[36:37], v[8:9]
	v_mul_f64 v[42:43], v[34:35], v[8:9]
	ds_read_b128 v[8:11], v62 offset:8064
	v_fma_f64 v[21:22], v[34:35], v[6:7], -v[21:22]
	v_fma_f64 v[42:43], v[36:37], v[6:7], v[42:43]
	global_load_dwordx4 v[34:37], v23, s[12:13] offset:160
	s_waitcnt vmcnt(5) lgkmcnt(0)
	v_mul_f64 v[6:7], v[10:11], v[15:16]
	v_mul_f64 v[15:16], v[8:9], v[15:16]
	v_fma_f64 v[44:45], v[8:9], v[13:14], -v[6:7]
	ds_read_b128 v[6:9], v62 offset:5040
	v_fma_f64 v[10:11], v[10:11], v[13:14], v[15:16]
	s_waitcnt vmcnt(4) lgkmcnt(0)
	v_mul_f64 v[13:14], v[8:9], v[19:20]
	v_mul_f64 v[15:16], v[6:7], v[19:20]
	v_fma_f64 v[46:47], v[6:7], v[17:18], -v[13:14]
	v_fma_f64 v[17:18], v[8:9], v[17:18], v[15:16]
	ds_read_b128 v[6:9], v62 offset:9072
	s_waitcnt vmcnt(3) lgkmcnt(0)
	v_mul_f64 v[13:14], v[8:9], v[28:29]
	v_mul_f64 v[15:16], v[6:7], v[28:29]
	v_fma_f64 v[48:49], v[6:7], v[26:27], -v[13:14]
	v_fma_f64 v[50:51], v[8:9], v[26:27], v[15:16]
	ds_read_b128 v[6:9], v62 offset:6048
	v_add_f64 v[26:27], v[42:43], -v[10:11]
	s_waitcnt vmcnt(2) lgkmcnt(0)
	v_mul_f64 v[13:14], v[8:9], v[32:33]
	v_mul_f64 v[15:16], v[6:7], v[32:33]
	v_fma_f64 v[52:53], v[6:7], v[30:31], -v[13:14]
	v_fma_f64 v[54:55], v[8:9], v[30:31], v[15:16]
	ds_read_b128 v[6:9], v62 offset:10080
	s_waitcnt vmcnt(1) lgkmcnt(0)
	v_mul_f64 v[13:14], v[8:9], v[40:41]
	v_mul_f64 v[15:16], v[6:7], v[40:41]
	v_fma_f64 v[63:64], v[6:7], v[38:39], -v[13:14]
	v_fma_f64 v[65:66], v[8:9], v[38:39], v[15:16]
	ds_read_b128 v[6:9], v62 offset:7056
	s_waitcnt vmcnt(0) lgkmcnt(0)
	v_mul_f64 v[13:14], v[8:9], v[36:37]
	v_mul_f64 v[15:16], v[6:7], v[36:37]
	v_fma_f64 v[67:68], v[6:7], v[34:35], -v[13:14]
	v_fma_f64 v[69:70], v[8:9], v[34:35], v[15:16]
	global_load_dwordx4 v[6:9], v23, s[12:13] offset:176
	ds_read_b128 v[13:16], v62 offset:11088
	s_waitcnt vmcnt(0) lgkmcnt(0)
	v_mul_f64 v[19:20], v[15:16], v[8:9]
	v_mul_f64 v[8:9], v[13:14], v[8:9]
	v_fma_f64 v[71:72], v[13:14], v[6:7], -v[19:20]
	v_add_f64 v[13:14], v[21:22], v[44:45]
	v_fma_f64 v[73:74], v[15:16], v[6:7], v[8:9]
	ds_read_b128 v[6:9], v62
	ds_read_b128 v[30:33], v62 offset:1008
	ds_read_b128 v[34:37], v62 offset:2016
	;; [unrolled: 1-line block ×3, first 2 shown]
	s_waitcnt lgkmcnt(0)
	; wave barrier
	s_waitcnt lgkmcnt(0)
	v_fma_f64 v[15:16], v[13:14], -0.5, v[6:7]
	v_add_f64 v[13:14], v[42:43], v[10:11]
	v_add_f64 v[6:7], v[6:7], v[21:22]
	v_fma_f64 v[19:20], v[13:14], -0.5, v[8:9]
	v_add_f64 v[8:9], v[8:9], v[42:43]
	v_add_f64 v[6:7], v[6:7], v[44:45]
	v_fma_f64 v[13:14], v[26:27], s[4:5], v[15:16]
	v_fma_f64 v[26:27], v[26:27], s[6:7], v[15:16]
	v_add_f64 v[8:9], v[8:9], v[10:11]
	v_add_f64 v[10:11], v[21:22], -v[44:45]
	v_fma_f64 v[15:16], v[10:11], s[6:7], v[19:20]
	v_fma_f64 v[28:29], v[10:11], s[4:5], v[19:20]
	v_mov_b32_e32 v20, 4
	v_mul_u32_u24_e32 v10, 0x240, v75
	v_lshlrev_b32_sdwa v11, v20, v76 dst_sel:DWORD dst_unused:UNUSED_PAD src0_sel:DWORD src1_sel:BYTE_0
	v_add3_u32 v10, 0, v10, v11
	ds_write_b128 v10, v[6:9]
	ds_write_b128 v10, v[13:16] offset:192
	ds_write_b128 v10, v[26:29] offset:384
	v_add_f64 v[6:7], v[46:47], v[48:49]
	v_add_f64 v[13:14], v[30:31], v[46:47]
	v_add_f64 v[15:16], v[17:18], -v[50:51]
	v_lshlrev_b32_sdwa v1, v20, v1 dst_sel:DWORD dst_unused:UNUSED_PAD src0_sel:DWORD src1_sel:BYTE_0
	v_lshlrev_b32_sdwa v2, v20, v2 dst_sel:DWORD dst_unused:UNUSED_PAD src0_sel:DWORD src1_sel:BYTE_0
	;; [unrolled: 1-line block ×3, first 2 shown]
	v_add3_u32 v2, 0, v3, v2
	v_add3_u32 v3, 0, v5, v4
	v_fma_f64 v[10:11], v[6:7], -0.5, v[30:31]
	v_add_f64 v[6:7], v[17:18], v[50:51]
	v_add_f64 v[30:31], v[34:35], v[52:53]
	v_fma_f64 v[26:27], v[15:16], s[6:7], v[10:11]
	v_fma_f64 v[21:22], v[6:7], -0.5, v[32:33]
	v_add_f64 v[6:7], v[32:33], v[17:18]
	v_add_f64 v[17:18], v[46:47], -v[48:49]
	v_add_f64 v[30:31], v[30:31], v[63:64]
	v_add_f64 v[8:9], v[6:7], v[50:51]
	;; [unrolled: 1-line block ×3, first 2 shown]
	v_fma_f64 v[13:14], v[15:16], s[4:5], v[10:11]
	v_fma_f64 v[15:16], v[17:18], s[6:7], v[21:22]
	;; [unrolled: 1-line block ×3, first 2 shown]
	v_add_f64 v[10:11], v[52:53], v[63:64]
	v_add_f64 v[17:18], v[54:55], v[65:66]
	;; [unrolled: 1-line block ×3, first 2 shown]
	v_add_f64 v[48:49], v[69:70], -v[73:74]
	v_fma_f64 v[10:11], v[10:11], -0.5, v[34:35]
	v_fma_f64 v[17:18], v[17:18], -0.5, v[36:37]
	v_add_f64 v[36:37], v[54:55], -v[65:66]
	v_add_f64 v[32:33], v[21:22], v[65:66]
	v_add_f64 v[21:22], v[52:53], -v[63:64]
	v_fma_f64 v[34:35], v[36:37], s[4:5], v[10:11]
	v_fma_f64 v[42:43], v[36:37], s[6:7], v[10:11]
	v_add_f64 v[10:11], v[67:68], v[71:72]
	v_fma_f64 v[36:37], v[21:22], s[6:7], v[17:18]
	v_fma_f64 v[44:45], v[21:22], s[4:5], v[17:18]
	v_add_f64 v[17:18], v[69:70], v[73:74]
	v_add_f64 v[21:22], v[40:41], v[69:70]
	v_fma_f64 v[10:11], v[10:11], -0.5, v[38:39]
	v_add_f64 v[38:39], v[38:39], v[67:68]
	v_fma_f64 v[17:18], v[17:18], -0.5, v[40:41]
	v_add_f64 v[40:41], v[21:22], v[73:74]
	v_add_f64 v[21:22], v[67:68], -v[71:72]
	v_fma_f64 v[46:47], v[48:49], s[4:5], v[10:11]
	v_fma_f64 v[50:51], v[48:49], s[6:7], v[10:11]
	v_subrev_u32_e32 v10, 36, v60
	v_cndmask_b32_e32 v19, v10, v60, vcc
	v_mov_b32_e32 v11, 0
	v_lshlrev_b32_e32 v10, 1, v19
	v_add_f64 v[38:39], v[38:39], v[71:72]
	v_fma_f64 v[48:49], v[21:22], s[6:7], v[17:18]
	v_fma_f64 v[52:53], v[21:22], s[4:5], v[17:18]
	v_add3_u32 v17, 0, v0, v1
	v_lshlrev_b64 v[0:1], 4, v[10:11]
	v_mov_b32_e32 v18, s13
	ds_write_b128 v17, v[6:9]
	ds_write_b128 v17, v[13:16] offset:192
	ds_write_b128 v17, v[26:29] offset:384
	ds_write_b128 v2, v[30:33]
	ds_write_b128 v2, v[34:37] offset:192
	ds_write_b128 v2, v[42:45] offset:384
	;; [unrolled: 3-line block ×3, first 2 shown]
	v_add_co_u32_e32 v8, vcc, s12, v0
	v_addc_co_u32_e32 v9, vcc, v18, v1, vcc
	s_waitcnt lgkmcnt(0)
	; wave barrier
	s_waitcnt lgkmcnt(0)
	global_load_dwordx4 v[0:3], v[8:9], off offset:544
	global_load_dwordx4 v[4:7], v[8:9], off offset:560
	v_mov_b32_e32 v17, 57
	v_mul_lo_u16_sdwa v8, v61, v17 dst_sel:DWORD dst_unused:UNUSED_PAD src0_sel:BYTE_0 src1_sel:DWORD
	v_lshrrev_b16_e32 v55, 11, v8
	v_mul_lo_u16_e32 v8, 36, v55
	v_sub_u16_e32 v63, v61, v8
	v_lshlrev_b32_sdwa v18, v12, v63 dst_sel:DWORD dst_unused:UNUSED_PAD src0_sel:DWORD src1_sel:BYTE_0
	global_load_dwordx4 v[8:11], v18, s[12:13] offset:544
	global_load_dwordx4 v[13:16], v18, s[12:13] offset:560
	v_mul_lo_u16_sdwa v18, v25, v17 dst_sel:DWORD dst_unused:UNUSED_PAD src0_sel:BYTE_0 src1_sel:DWORD
	v_lshrrev_b16_e32 v64, 11, v18
	v_mul_lo_u16_e32 v18, 36, v64
	v_sub_u16_e32 v65, v25, v18
	v_lshlrev_b32_sdwa v18, v12, v65 dst_sel:DWORD dst_unused:UNUSED_PAD src0_sel:DWORD src1_sel:BYTE_0
	global_load_dwordx4 v[25:28], v18, s[12:13] offset:544
	global_load_dwordx4 v[29:32], v18, s[12:13] offset:560
	ds_read_b128 v[33:36], v62 offset:4032
	v_mul_lo_u16_sdwa v17, v24, v17 dst_sel:DWORD dst_unused:UNUSED_PAD src0_sel:BYTE_0 src1_sel:DWORD
	v_lshrrev_b16_e32 v66, 11, v17
	v_mul_lo_u16_e32 v21, 36, v66
	v_sub_u16_e32 v67, v24, v21
	ds_read_b128 v[21:24], v62 offset:8064
	v_lshlrev_b32_sdwa v12, v12, v67 dst_sel:DWORD dst_unused:UNUSED_PAD src0_sel:DWORD src1_sel:BYTE_0
	global_load_dwordx4 v[37:40], v12, s[12:13] offset:544
	v_cmp_lt_u32_e32 vcc, 35, v60
	s_waitcnt vmcnt(6) lgkmcnt(1)
	v_mul_f64 v[17:18], v[35:36], v[2:3]
	v_mul_f64 v[2:3], v[33:34], v[2:3]
	v_fma_f64 v[17:18], v[33:34], v[0:1], -v[17:18]
	v_fma_f64 v[33:34], v[35:36], v[0:1], v[2:3]
	s_waitcnt vmcnt(5) lgkmcnt(0)
	v_mul_f64 v[35:36], v[23:24], v[6:7]
	v_mul_f64 v[6:7], v[21:22], v[6:7]
	ds_read_b128 v[0:3], v62 offset:5040
	v_fma_f64 v[21:22], v[21:22], v[4:5], -v[35:36]
	v_fma_f64 v[23:24], v[23:24], v[4:5], v[6:7]
	global_load_dwordx4 v[4:7], v12, s[12:13] offset:560
	s_waitcnt vmcnt(5) lgkmcnt(0)
	v_mul_f64 v[35:36], v[2:3], v[10:11]
	v_mul_f64 v[10:11], v[0:1], v[10:11]
	v_fma_f64 v[35:36], v[0:1], v[8:9], -v[35:36]
	v_fma_f64 v[41:42], v[2:3], v[8:9], v[10:11]
	ds_read_b128 v[0:3], v62 offset:9072
	s_waitcnt vmcnt(4) lgkmcnt(0)
	v_mul_f64 v[8:9], v[2:3], v[15:16]
	v_mul_f64 v[10:11], v[0:1], v[15:16]
	v_fma_f64 v[43:44], v[0:1], v[13:14], -v[8:9]
	v_fma_f64 v[45:46], v[2:3], v[13:14], v[10:11]
	ds_read_b128 v[0:3], v62 offset:6048
	v_add_f64 v[12:13], v[17:18], -v[21:22]
	s_waitcnt vmcnt(3) lgkmcnt(0)
	v_mul_f64 v[8:9], v[2:3], v[27:28]
	v_mul_f64 v[10:11], v[0:1], v[27:28]
	v_fma_f64 v[47:48], v[0:1], v[25:26], -v[8:9]
	v_fma_f64 v[49:50], v[2:3], v[25:26], v[10:11]
	ds_read_b128 v[0:3], v62 offset:10080
	s_waitcnt vmcnt(2) lgkmcnt(0)
	v_mul_f64 v[8:9], v[2:3], v[31:32]
	v_mul_f64 v[10:11], v[0:1], v[31:32]
	v_fma_f64 v[31:32], v[0:1], v[29:30], -v[8:9]
	v_fma_f64 v[29:30], v[2:3], v[29:30], v[10:11]
	ds_read_b128 v[0:3], v62 offset:7056
	s_waitcnt vmcnt(1) lgkmcnt(0)
	v_mul_f64 v[8:9], v[2:3], v[39:40]
	v_mul_f64 v[10:11], v[0:1], v[39:40]
	v_fma_f64 v[39:40], v[0:1], v[37:38], -v[8:9]
	v_fma_f64 v[37:38], v[2:3], v[37:38], v[10:11]
	ds_read_b128 v[0:3], v62 offset:11088
	s_waitcnt vmcnt(0) lgkmcnt(0)
	v_mul_f64 v[8:9], v[2:3], v[6:7]
	v_mul_f64 v[6:7], v[0:1], v[6:7]
	v_fma_f64 v[51:52], v[0:1], v[4:5], -v[8:9]
	v_fma_f64 v[53:54], v[2:3], v[4:5], v[6:7]
	v_add_f64 v[4:5], v[17:18], v[21:22]
	v_add_f64 v[6:7], v[33:34], v[23:24]
	ds_read_b128 v[0:3], v62
	s_waitcnt lgkmcnt(0)
	v_fma_f64 v[8:9], v[4:5], -0.5, v[0:1]
	v_fma_f64 v[10:11], v[6:7], -0.5, v[2:3]
	v_add_f64 v[2:3], v[2:3], v[33:34]
	v_add_f64 v[0:1], v[0:1], v[17:18]
	v_add_f64 v[6:7], v[33:34], -v[23:24]
	v_mov_b32_e32 v4, 0x6c0
	v_cndmask_b32_e32 v4, 0, v4, vcc
	v_lshlrev_b32_e32 v5, 4, v19
	v_add3_u32 v68, 0, v4, v5
	v_add_f64 v[33:34], v[35:36], -v[43:44]
	v_add_f64 v[2:3], v[2:3], v[23:24]
	v_add_f64 v[0:1], v[0:1], v[21:22]
	v_fma_f64 v[4:5], v[6:7], s[4:5], v[8:9]
	v_fma_f64 v[8:9], v[6:7], s[6:7], v[8:9]
	;; [unrolled: 1-line block ×4, first 2 shown]
	ds_read_b128 v[12:15], v62 offset:1008
	ds_read_b128 v[16:19], v62 offset:2016
	;; [unrolled: 1-line block ×3, first 2 shown]
	s_waitcnt lgkmcnt(0)
	; wave barrier
	s_waitcnt lgkmcnt(0)
	ds_write_b128 v68, v[0:3]
	v_add_f64 v[0:1], v[35:36], v[43:44]
	v_cmp_gt_u32_e32 vcc, 45, v60
	ds_write_b128 v68, v[4:7] offset:576
	ds_write_b128 v68, v[8:11] offset:1152
	v_add_f64 v[8:9], v[18:19], v[49:50]
	v_mul_u32_u24_e32 v4, 0x6c0, v55
	v_lshlrev_b32_sdwa v5, v20, v63 dst_sel:DWORD dst_unused:UNUSED_PAD src0_sel:DWORD src1_sel:BYTE_0
	v_add_f64 v[6:7], v[49:50], v[29:30]
	v_fma_f64 v[25:26], v[0:1], -0.5, v[12:13]
	v_add_f64 v[0:1], v[41:42], v[45:46]
	v_add_f64 v[12:13], v[12:13], v[35:36]
	;; [unrolled: 1-line block ×3, first 2 shown]
	v_fma_f64 v[6:7], v[6:7], -0.5, v[18:19]
	v_add_f64 v[18:19], v[37:38], -v[53:54]
	v_fma_f64 v[27:28], v[0:1], -0.5, v[14:15]
	v_add_f64 v[0:1], v[14:15], v[41:42]
	v_add_f64 v[14:15], v[41:42], -v[45:46]
	v_add_f64 v[2:3], v[0:1], v[45:46]
	v_add_f64 v[0:1], v[12:13], v[43:44]
	v_fma_f64 v[12:13], v[14:15], s[4:5], v[25:26]
	v_fma_f64 v[25:26], v[14:15], s[6:7], v[25:26]
	;; [unrolled: 1-line block ×4, first 2 shown]
	v_add3_u32 v33, 0, v4, v5
	v_add_f64 v[4:5], v[47:48], v[31:32]
	ds_write_b128 v33, v[0:3]
	v_add_f64 v[0:1], v[16:17], v[47:48]
	ds_write_b128 v33, v[12:15] offset:576
	ds_write_b128 v33, v[25:28] offset:1152
	v_add_f64 v[27:28], v[8:9], v[29:30]
	v_add_f64 v[8:9], v[37:38], v[53:54]
	v_fma_f64 v[2:3], v[4:5], -0.5, v[16:17]
	v_add_f64 v[4:5], v[49:50], -v[29:30]
	v_add_f64 v[12:13], v[47:48], -v[31:32]
	v_fma_f64 v[14:15], v[10:11], -0.5, v[21:22]
	v_add_f64 v[10:11], v[23:24], v[37:38]
	v_add_f64 v[16:17], v[21:22], v[39:40]
	;; [unrolled: 1-line block ×3, first 2 shown]
	v_fma_f64 v[21:22], v[8:9], -0.5, v[23:24]
	v_add_f64 v[23:24], v[39:40], -v[51:52]
	v_fma_f64 v[0:1], v[4:5], s[4:5], v[2:3]
	v_fma_f64 v[4:5], v[4:5], s[6:7], v[2:3]
	;; [unrolled: 1-line block ×4, first 2 shown]
	v_add_f64 v[10:11], v[10:11], v[53:54]
	v_add_f64 v[8:9], v[16:17], v[51:52]
	v_fma_f64 v[12:13], v[18:19], s[4:5], v[14:15]
	v_fma_f64 v[16:17], v[18:19], s[6:7], v[14:15]
	;; [unrolled: 1-line block ×4, first 2 shown]
	v_mul_u32_u24_e32 v21, 0x6c0, v64
	v_lshlrev_b32_sdwa v22, v20, v65 dst_sel:DWORD dst_unused:UNUSED_PAD src0_sel:DWORD src1_sel:BYTE_0
	v_add3_u32 v21, 0, v21, v22
	ds_write_b128 v21, v[25:28]
	ds_write_b128 v21, v[0:3] offset:576
	ds_write_b128 v21, v[4:7] offset:1152
	v_lshlrev_b32_sdwa v20, v20, v67 dst_sel:DWORD dst_unused:UNUSED_PAD src0_sel:DWORD src1_sel:BYTE_0
	v_mul_u32_u24_e32 v21, 0x6c0, v66
	v_add3_u32 v20, 0, v21, v20
	ds_write_b128 v20, v[8:11]
	ds_write_b128 v20, v[12:15] offset:576
	ds_write_b128 v20, v[16:19] offset:1152
	s_waitcnt lgkmcnt(0)
	; wave barrier
	s_waitcnt lgkmcnt(0)
	ds_read_b128 v[28:31], v62
	ds_read_b128 v[52:55], v62 offset:1728
	ds_read_b128 v[48:51], v62 offset:3456
	;; [unrolled: 1-line block ×6, first 2 shown]
                                        ; implicit-def: $vgpr26_vgpr27
                                        ; implicit-def: $vgpr22_vgpr23
	s_and_saveexec_b64 s[4:5], vcc
	s_cbranch_execz .LBB0_21
; %bb.20:
	ds_read_b128 v[0:3], v62 offset:1008
	ds_read_b128 v[4:7], v62 offset:2736
	;; [unrolled: 1-line block ×7, first 2 shown]
.LBB0_21:
	s_or_b64 exec, exec, s[4:5]
	v_mul_u32_u24_e32 v63, 6, v60
	v_lshlrev_b32_e32 v81, 4, v63
	global_load_dwordx4 v[63:66], v81, s[12:13] offset:1744
	global_load_dwordx4 v[67:70], v81, s[12:13] offset:1728
	;; [unrolled: 1-line block ×4, first 2 shown]
	s_mov_b32 s4, 0x37e14327
	s_mov_b32 s8, 0x36b3c0b5
	s_mov_b32 s16, 0xe976ee23
	s_mov_b32 s5, 0x3fe948f6
	s_mov_b32 s9, 0x3fac98ee
	s_mov_b32 s17, 0xbfe11646
	s_mov_b32 s6, 0x429ad128
	s_mov_b32 s7, 0x3febfeb5
	s_mov_b32 s14, 0xaaaaaaaa
	s_mov_b32 s18, 0x5476071b
	s_mov_b32 s22, 0xb247c609
	s_mov_b32 s15, 0xbff2aaaa
	s_mov_b32 s19, 0x3fe77f67
	s_mov_b32 s21, 0xbfe77f67
	s_mov_b32 s20, s18
	s_mov_b32 s23, 0x3fd5d0dc
	s_mov_b32 s27, 0xbfd5d0dc
	s_mov_b32 s26, s22
	s_mov_b32 s24, 0x37c3f68c
	s_mov_b32 s25, 0x3fdc38aa
	s_waitcnt vmcnt(0) lgkmcnt(5)
	v_mul_f64 v[79:80], v[54:55], v[77:78]
	v_fma_f64 v[79:80], v[52:53], v[75:76], -v[79:80]
	v_mul_f64 v[52:53], v[52:53], v[77:78]
	v_fma_f64 v[52:53], v[54:55], v[75:76], v[52:53]
	s_waitcnt lgkmcnt(4)
	v_mul_f64 v[54:55], v[50:51], v[73:74]
	v_fma_f64 v[54:55], v[48:49], v[71:72], -v[54:55]
	v_mul_f64 v[48:49], v[48:49], v[73:74]
	v_fma_f64 v[48:49], v[50:51], v[71:72], v[48:49]
	s_waitcnt lgkmcnt(3)
	;; [unrolled: 5-line block ×3, first 2 shown]
	v_mul_f64 v[44:45], v[42:43], v[65:66]
	v_fma_f64 v[69:70], v[40:41], v[63:64], -v[44:45]
	v_mul_f64 v[40:41], v[40:41], v[65:66]
	v_fma_f64 v[63:64], v[42:43], v[63:64], v[40:41]
	global_load_dwordx4 v[40:43], v81, s[12:13] offset:1776
	global_load_dwordx4 v[44:47], v81, s[12:13] offset:1760
	s_waitcnt lgkmcnt(0)
	; wave barrier
	s_waitcnt vmcnt(0) lgkmcnt(0)
	v_mul_f64 v[65:66], v[38:39], v[46:47]
	v_fma_f64 v[65:66], v[36:37], v[44:45], -v[65:66]
	v_mul_f64 v[36:37], v[36:37], v[46:47]
	v_add_f64 v[46:47], v[54:55], -v[65:66]
	v_fma_f64 v[36:37], v[38:39], v[44:45], v[36:37]
	v_mul_f64 v[38:39], v[34:35], v[42:43]
	v_add_f64 v[44:45], v[48:49], v[36:37]
	v_fma_f64 v[38:39], v[32:33], v[40:41], -v[38:39]
	v_mul_f64 v[32:33], v[32:33], v[42:43]
	v_add_f64 v[42:43], v[54:55], v[65:66]
	v_add_f64 v[36:37], v[48:49], -v[36:37]
	v_add_f64 v[48:49], v[50:51], v[69:70]
	v_add_f64 v[50:51], v[69:70], -v[50:51]
	v_add_f64 v[54:55], v[63:64], -v[67:68]
	v_fma_f64 v[32:33], v[34:35], v[40:41], v[32:33]
	v_add_f64 v[34:35], v[79:80], v[38:39]
	v_add_f64 v[38:39], v[79:80], -v[38:39]
	v_add_f64 v[71:72], v[50:51], v[46:47]
	v_add_f64 v[73:74], v[54:55], v[36:37]
	v_add_f64 v[75:76], v[50:51], -v[46:47]
	v_add_f64 v[77:78], v[54:55], -v[36:37]
	v_add_f64 v[40:41], v[52:53], v[32:33]
	v_add_f64 v[32:33], v[52:53], -v[32:33]
	v_add_f64 v[52:53], v[67:68], v[63:64]
	v_add_f64 v[63:64], v[42:43], v[34:35]
	v_add_f64 v[67:68], v[42:43], -v[34:35]
	v_add_f64 v[34:35], v[34:35], -v[48:49]
	;; [unrolled: 1-line block ×4, first 2 shown]
	v_add_f64 v[65:66], v[44:45], v[40:41]
	v_add_f64 v[69:70], v[44:45], -v[40:41]
	v_add_f64 v[40:41], v[40:41], -v[52:53]
	;; [unrolled: 1-line block ×3, first 2 shown]
	v_add_f64 v[48:49], v[48:49], v[63:64]
	v_add_f64 v[36:37], v[36:37], -v[32:33]
	v_add_f64 v[50:51], v[38:39], -v[50:51]
	;; [unrolled: 1-line block ×3, first 2 shown]
	v_add_f64 v[52:53], v[52:53], v[65:66]
	v_add_f64 v[38:39], v[71:72], v[38:39]
	v_add_f64 v[32:33], v[73:74], v[32:33]
	v_mul_f64 v[34:35], v[34:35], s[4:5]
	v_add_f64 v[28:29], v[28:29], v[48:49]
	v_mul_f64 v[40:41], v[40:41], s[4:5]
	v_mul_f64 v[63:64], v[42:43], s[8:9]
	;; [unrolled: 1-line block ×3, first 2 shown]
	v_add_f64 v[30:31], v[30:31], v[52:53]
	v_mul_f64 v[71:72], v[75:76], s[16:17]
	v_mul_f64 v[73:74], v[77:78], s[16:17]
	;; [unrolled: 1-line block ×4, first 2 shown]
	v_fma_f64 v[48:49], v[48:49], s[14:15], v[28:29]
	v_fma_f64 v[42:43], v[42:43], s[8:9], v[34:35]
	;; [unrolled: 1-line block ×4, first 2 shown]
	v_fma_f64 v[63:64], v[67:68], s[18:19], -v[63:64]
	v_fma_f64 v[65:66], v[69:70], s[18:19], -v[65:66]
	;; [unrolled: 1-line block ×4, first 2 shown]
	v_fma_f64 v[67:68], v[50:51], s[22:23], v[71:72]
	v_fma_f64 v[69:70], v[54:55], s[22:23], v[73:74]
	v_fma_f64 v[50:51], v[50:51], s[26:27], -v[75:76]
	v_fma_f64 v[54:55], v[54:55], s[26:27], -v[77:78]
	;; [unrolled: 1-line block ×4, first 2 shown]
	v_add_f64 v[71:72], v[42:43], v[48:49]
	v_add_f64 v[73:74], v[44:45], v[52:53]
	v_add_f64 v[44:45], v[63:64], v[48:49]
	v_add_f64 v[63:64], v[65:66], v[52:53]
	v_fma_f64 v[65:66], v[38:39], s[24:25], v[67:68]
	v_fma_f64 v[67:68], v[32:33], s[24:25], v[69:70]
	v_add_f64 v[48:49], v[34:35], v[48:49]
	v_add_f64 v[52:53], v[40:41], v[52:53]
	v_fma_f64 v[50:51], v[38:39], s[24:25], v[50:51]
	v_fma_f64 v[54:55], v[32:33], s[24:25], v[54:55]
	;; [unrolled: 1-line block ×4, first 2 shown]
	v_add_f64 v[34:35], v[73:74], -v[65:66]
	v_add_f64 v[32:33], v[67:68], v[71:72]
	v_add_f64 v[38:39], v[52:53], -v[50:51]
	v_add_f64 v[36:37], v[54:55], v[48:49]
	v_add_f64 v[42:43], v[46:47], v[63:64]
	v_add_f64 v[40:41], v[44:45], -v[69:70]
	v_add_f64 v[44:45], v[69:70], v[44:45]
	v_add_f64 v[46:47], v[63:64], -v[46:47]
	v_add_f64 v[48:49], v[48:49], -v[54:55]
	v_add_f64 v[50:51], v[50:51], v[52:53]
	v_add_f64 v[52:53], v[71:72], -v[67:68]
	v_add_f64 v[54:55], v[65:66], v[73:74]
	ds_write_b128 v62, v[28:31]
	ds_write_b128 v62, v[32:35] offset:1728
	ds_write_b128 v62, v[36:39] offset:3456
	;; [unrolled: 1-line block ×6, first 2 shown]
	s_and_saveexec_b64 s[28:29], vcc
	s_cbranch_execz .LBB0_23
; %bb.22:
	v_subrev_u32_e32 v28, 45, v60
	v_cndmask_b32_e32 v28, v28, v61, vcc
	v_mul_i32_i24_e32 v28, 6, v28
	v_mov_b32_e32 v29, 0
	v_lshlrev_b64 v[28:29], 4, v[28:29]
	v_mov_b32_e32 v30, s13
	v_add_co_u32_e32 v52, vcc, s12, v28
	v_addc_co_u32_e32 v53, vcc, v30, v29, vcc
	global_load_dwordx4 v[28:31], v[52:53], off offset:1744
	global_load_dwordx4 v[32:35], v[52:53], off offset:1728
	global_load_dwordx4 v[36:39], v[52:53], off offset:1712
	global_load_dwordx4 v[40:43], v[52:53], off offset:1760
	global_load_dwordx4 v[44:47], v[52:53], off offset:1696
	global_load_dwordx4 v[48:51], v[52:53], off offset:1776
	s_waitcnt vmcnt(5)
	v_mul_f64 v[52:53], v[18:19], v[30:31]
	s_waitcnt vmcnt(4)
	v_mul_f64 v[54:55], v[14:15], v[34:35]
	s_waitcnt vmcnt(3)
	v_mul_f64 v[63:64], v[10:11], v[38:39]
	s_waitcnt vmcnt(2)
	v_mul_f64 v[65:66], v[22:23], v[42:43]
	s_waitcnt vmcnt(1)
	v_mul_f64 v[67:68], v[6:7], v[46:47]
	s_waitcnt vmcnt(0)
	v_mul_f64 v[69:70], v[26:27], v[50:51]
	v_mul_f64 v[38:39], v[8:9], v[38:39]
	v_mul_f64 v[42:43], v[20:21], v[42:43]
	v_mul_f64 v[46:47], v[4:5], v[46:47]
	v_mul_f64 v[50:51], v[24:25], v[50:51]
	v_mul_f64 v[34:35], v[12:13], v[34:35]
	v_mul_f64 v[30:31], v[16:17], v[30:31]
	v_fma_f64 v[8:9], v[8:9], v[36:37], -v[63:64]
	v_fma_f64 v[20:21], v[20:21], v[40:41], -v[65:66]
	;; [unrolled: 1-line block ×4, first 2 shown]
	v_fma_f64 v[10:11], v[10:11], v[36:37], v[38:39]
	v_fma_f64 v[22:23], v[22:23], v[40:41], v[42:43]
	;; [unrolled: 1-line block ×4, first 2 shown]
	v_fma_f64 v[16:17], v[16:17], v[28:29], -v[52:53]
	v_fma_f64 v[12:13], v[12:13], v[32:33], -v[54:55]
	v_fma_f64 v[14:15], v[14:15], v[32:33], v[34:35]
	v_fma_f64 v[18:19], v[18:19], v[28:29], v[30:31]
	v_add_f64 v[30:31], v[8:9], -v[20:21]
	v_add_f64 v[32:33], v[4:5], -v[24:25]
	v_add_f64 v[36:37], v[10:11], v[22:23]
	v_add_f64 v[38:39], v[6:7], v[26:27]
	;; [unrolled: 1-line block ×4, first 2 shown]
	v_add_f64 v[28:29], v[16:17], -v[12:13]
	v_add_f64 v[34:35], v[14:15], v[18:19]
	v_add_f64 v[12:13], v[12:13], v[16:17]
	v_add_f64 v[14:15], v[18:19], -v[14:15]
	v_add_f64 v[10:11], v[10:11], -v[22:23]
	;; [unrolled: 1-line block ×3, first 2 shown]
	v_add_f64 v[26:27], v[36:37], v[38:39]
	v_add_f64 v[42:43], v[8:9], v[4:5]
	;; [unrolled: 1-line block ×3, first 2 shown]
	v_add_f64 v[18:19], v[28:29], -v[30:31]
	v_add_f64 v[20:21], v[32:33], -v[28:29]
	;; [unrolled: 1-line block ×6, first 2 shown]
	v_add_f64 v[26:27], v[34:35], v[26:27]
	v_add_f64 v[12:13], v[12:13], v[42:43]
	v_add_f64 v[30:31], v[30:31], -v[32:33]
	v_add_f64 v[4:5], v[8:9], -v[4:5]
	;; [unrolled: 1-line block ×4, first 2 shown]
	v_add_f64 v[44:45], v[14:15], v[10:11]
	v_add_f64 v[14:15], v[6:7], -v[14:15]
	v_add_f64 v[36:37], v[36:37], -v[38:39]
	v_add_f64 v[10:11], v[16:17], v[32:33]
	v_mul_f64 v[16:17], v[18:19], s[16:17]
	v_mul_f64 v[24:25], v[24:25], s[4:5]
	;; [unrolled: 1-line block ×4, first 2 shown]
	v_add_f64 v[2:3], v[2:3], v[26:27]
	v_add_f64 v[0:1], v[0:1], v[12:13]
	v_mul_f64 v[40:41], v[30:31], s[6:7]
	v_mul_f64 v[42:43], v[8:9], s[6:7]
	;; [unrolled: 1-line block ×4, first 2 shown]
	v_add_f64 v[6:7], v[44:45], v[6:7]
	v_fma_f64 v[44:45], v[20:21], s[22:23], v[16:17]
	v_fma_f64 v[22:23], v[22:23], s[8:9], v[24:25]
	v_fma_f64 v[28:29], v[28:29], s[8:9], v[34:35]
	v_fma_f64 v[46:47], v[14:15], s[22:23], v[38:39]
	v_fma_f64 v[26:27], v[26:27], s[14:15], v[2:3]
	v_fma_f64 v[12:13], v[12:13], s[14:15], v[0:1]
	v_fma_f64 v[20:21], v[20:21], s[26:27], -v[40:41]
	v_fma_f64 v[24:25], v[36:37], s[20:21], -v[24:25]
	;; [unrolled: 1-line block ×8, first 2 shown]
	v_fma_f64 v[30:31], v[10:11], s[24:25], v[44:45]
	v_fma_f64 v[32:33], v[6:7], s[24:25], v[46:47]
	v_add_f64 v[36:37], v[22:23], v[26:27]
	v_add_f64 v[28:29], v[28:29], v[12:13]
	v_fma_f64 v[20:21], v[10:11], s[24:25], v[20:21]
	v_add_f64 v[22:23], v[24:25], v[26:27]
	v_fma_f64 v[38:39], v[6:7], s[24:25], v[14:15]
	v_add_f64 v[34:35], v[34:35], v[12:13]
	v_fma_f64 v[16:17], v[10:11], s[24:25], v[16:17]
	v_add_f64 v[18:19], v[18:19], v[26:27]
	v_fma_f64 v[8:9], v[6:7], s[24:25], v[8:9]
	v_add_f64 v[4:5], v[4:5], v[12:13]
	v_add_f64 v[26:27], v[36:37], -v[30:31]
	v_add_f64 v[24:25], v[32:33], v[28:29]
	v_add_f64 v[10:11], v[20:21], v[22:23]
	v_add_f64 v[22:23], v[22:23], -v[20:21]
	v_add_f64 v[20:21], v[38:39], v[34:35]
	v_add_f64 v[14:15], v[18:19], -v[16:17]
	;; [unrolled: 2-line block ×5, first 2 shown]
	ds_write_b128 v62, v[0:3] offset:1008
	ds_write_b128 v62, v[24:27] offset:2736
	;; [unrolled: 1-line block ×7, first 2 shown]
.LBB0_23:
	s_or_b64 exec, exec, s[28:29]
	s_waitcnt lgkmcnt(0)
	; wave barrier
	s_waitcnt lgkmcnt(0)
	s_and_saveexec_b64 s[4:5], s[0:1]
	s_cbranch_execz .LBB0_25
; %bb.24:
	v_mul_lo_u32 v0, s3, v58
	v_mul_lo_u32 v1, s2, v59
	v_mad_u64_u32 v[4:5], s[0:1], s2, v58, 0
	v_mov_b32_e32 v6, s11
	v_lshl_add_u32 v10, v60, 4, 0
	v_add3_u32 v5, v5, v1, v0
	v_lshlrev_b64 v[4:5], 4, v[4:5]
	v_mov_b32_e32 v61, 0
	v_add_co_u32_e32 v7, vcc, s10, v4
	v_addc_co_u32_e32 v6, vcc, v6, v5, vcc
	v_lshlrev_b64 v[4:5], 4, v[56:57]
	ds_read_b128 v[0:3], v10
	v_add_co_u32_e32 v11, vcc, v7, v4
	v_addc_co_u32_e32 v12, vcc, v6, v5, vcc
	v_lshlrev_b64 v[4:5], 4, v[60:61]
	v_add_co_u32_e32 v8, vcc, v11, v4
	v_addc_co_u32_e32 v9, vcc, v12, v5, vcc
	ds_read_b128 v[4:7], v10 offset:1008
	s_waitcnt lgkmcnt(1)
	global_store_dwordx4 v[8:9], v[0:3], off
	s_nop 0
	v_add_u32_e32 v0, 63, v60
	v_mov_b32_e32 v1, v61
	v_lshlrev_b64 v[0:1], 4, v[0:1]
	v_add_co_u32_e32 v0, vcc, v11, v0
	v_addc_co_u32_e32 v1, vcc, v12, v1, vcc
	s_waitcnt lgkmcnt(0)
	global_store_dwordx4 v[0:1], v[4:7], off
	ds_read_b128 v[0:3], v10 offset:2016
	v_add_u32_e32 v4, 0x7e, v60
	v_mov_b32_e32 v5, v61
	v_lshlrev_b64 v[4:5], 4, v[4:5]
	v_add_co_u32_e32 v8, vcc, v11, v4
	v_addc_co_u32_e32 v9, vcc, v12, v5, vcc
	ds_read_b128 v[4:7], v10 offset:3024
	s_waitcnt lgkmcnt(1)
	global_store_dwordx4 v[8:9], v[0:3], off
	s_nop 0
	v_add_u32_e32 v0, 0xbd, v60
	v_mov_b32_e32 v1, v61
	v_lshlrev_b64 v[0:1], 4, v[0:1]
	v_add_co_u32_e32 v0, vcc, v11, v0
	v_addc_co_u32_e32 v1, vcc, v12, v1, vcc
	s_waitcnt lgkmcnt(0)
	global_store_dwordx4 v[0:1], v[4:7], off
	ds_read_b128 v[0:3], v10 offset:4032
	v_add_u32_e32 v4, 0xfc, v60
	v_mov_b32_e32 v5, v61
	;; [unrolled: 17-line block ×5, first 2 shown]
	v_lshlrev_b64 v[4:5], 4, v[4:5]
	v_add_u32_e32 v60, 0x2b5, v60
	v_add_co_u32_e32 v8, vcc, v11, v4
	v_addc_co_u32_e32 v9, vcc, v12, v5, vcc
	ds_read_b128 v[4:7], v10 offset:11088
	s_waitcnt lgkmcnt(1)
	global_store_dwordx4 v[8:9], v[0:3], off
	s_nop 0
	v_lshlrev_b64 v[0:1], 4, v[60:61]
	v_add_co_u32_e32 v0, vcc, v11, v0
	v_addc_co_u32_e32 v1, vcc, v12, v1, vcc
	s_waitcnt lgkmcnt(0)
	global_store_dwordx4 v[0:1], v[4:7], off
.LBB0_25:
	s_endpgm
	.section	.rodata,"a",@progbits
	.p2align	6, 0x0
	.amdhsa_kernel fft_rtc_fwd_len756_factors_2_2_3_3_3_7_wgs_63_tpt_63_dp_op_CI_CI_unitstride_sbrr_C2R_dirReg
		.amdhsa_group_segment_fixed_size 0
		.amdhsa_private_segment_fixed_size 0
		.amdhsa_kernarg_size 104
		.amdhsa_user_sgpr_count 6
		.amdhsa_user_sgpr_private_segment_buffer 1
		.amdhsa_user_sgpr_dispatch_ptr 0
		.amdhsa_user_sgpr_queue_ptr 0
		.amdhsa_user_sgpr_kernarg_segment_ptr 1
		.amdhsa_user_sgpr_dispatch_id 0
		.amdhsa_user_sgpr_flat_scratch_init 0
		.amdhsa_user_sgpr_private_segment_size 0
		.amdhsa_uses_dynamic_stack 0
		.amdhsa_system_sgpr_private_segment_wavefront_offset 0
		.amdhsa_system_sgpr_workgroup_id_x 1
		.amdhsa_system_sgpr_workgroup_id_y 0
		.amdhsa_system_sgpr_workgroup_id_z 0
		.amdhsa_system_sgpr_workgroup_info 0
		.amdhsa_system_vgpr_workitem_id 0
		.amdhsa_next_free_vgpr 82
		.amdhsa_next_free_sgpr 30
		.amdhsa_reserve_vcc 1
		.amdhsa_reserve_flat_scratch 0
		.amdhsa_float_round_mode_32 0
		.amdhsa_float_round_mode_16_64 0
		.amdhsa_float_denorm_mode_32 3
		.amdhsa_float_denorm_mode_16_64 3
		.amdhsa_dx10_clamp 1
		.amdhsa_ieee_mode 1
		.amdhsa_fp16_overflow 0
		.amdhsa_exception_fp_ieee_invalid_op 0
		.amdhsa_exception_fp_denorm_src 0
		.amdhsa_exception_fp_ieee_div_zero 0
		.amdhsa_exception_fp_ieee_overflow 0
		.amdhsa_exception_fp_ieee_underflow 0
		.amdhsa_exception_fp_ieee_inexact 0
		.amdhsa_exception_int_div_zero 0
	.end_amdhsa_kernel
	.text
.Lfunc_end0:
	.size	fft_rtc_fwd_len756_factors_2_2_3_3_3_7_wgs_63_tpt_63_dp_op_CI_CI_unitstride_sbrr_C2R_dirReg, .Lfunc_end0-fft_rtc_fwd_len756_factors_2_2_3_3_3_7_wgs_63_tpt_63_dp_op_CI_CI_unitstride_sbrr_C2R_dirReg
                                        ; -- End function
	.section	.AMDGPU.csdata,"",@progbits
; Kernel info:
; codeLenInByte = 10604
; NumSgprs: 34
; NumVgprs: 82
; ScratchSize: 0
; MemoryBound: 0
; FloatMode: 240
; IeeeMode: 1
; LDSByteSize: 0 bytes/workgroup (compile time only)
; SGPRBlocks: 4
; VGPRBlocks: 20
; NumSGPRsForWavesPerEU: 34
; NumVGPRsForWavesPerEU: 82
; Occupancy: 3
; WaveLimiterHint : 1
; COMPUTE_PGM_RSRC2:SCRATCH_EN: 0
; COMPUTE_PGM_RSRC2:USER_SGPR: 6
; COMPUTE_PGM_RSRC2:TRAP_HANDLER: 0
; COMPUTE_PGM_RSRC2:TGID_X_EN: 1
; COMPUTE_PGM_RSRC2:TGID_Y_EN: 0
; COMPUTE_PGM_RSRC2:TGID_Z_EN: 0
; COMPUTE_PGM_RSRC2:TIDIG_COMP_CNT: 0
	.type	__hip_cuid_8293e55763309903,@object ; @__hip_cuid_8293e55763309903
	.section	.bss,"aw",@nobits
	.globl	__hip_cuid_8293e55763309903
__hip_cuid_8293e55763309903:
	.byte	0                               ; 0x0
	.size	__hip_cuid_8293e55763309903, 1

	.ident	"AMD clang version 19.0.0git (https://github.com/RadeonOpenCompute/llvm-project roc-6.4.0 25133 c7fe45cf4b819c5991fe208aaa96edf142730f1d)"
	.section	".note.GNU-stack","",@progbits
	.addrsig
	.addrsig_sym __hip_cuid_8293e55763309903
	.amdgpu_metadata
---
amdhsa.kernels:
  - .args:
      - .actual_access:  read_only
        .address_space:  global
        .offset:         0
        .size:           8
        .value_kind:     global_buffer
      - .offset:         8
        .size:           8
        .value_kind:     by_value
      - .actual_access:  read_only
        .address_space:  global
        .offset:         16
        .size:           8
        .value_kind:     global_buffer
      - .actual_access:  read_only
        .address_space:  global
        .offset:         24
        .size:           8
        .value_kind:     global_buffer
      - .actual_access:  read_only
        .address_space:  global
        .offset:         32
        .size:           8
        .value_kind:     global_buffer
      - .offset:         40
        .size:           8
        .value_kind:     by_value
      - .actual_access:  read_only
        .address_space:  global
        .offset:         48
        .size:           8
        .value_kind:     global_buffer
      - .actual_access:  read_only
        .address_space:  global
        .offset:         56
        .size:           8
        .value_kind:     global_buffer
      - .offset:         64
        .size:           4
        .value_kind:     by_value
      - .actual_access:  read_only
        .address_space:  global
        .offset:         72
        .size:           8
        .value_kind:     global_buffer
      - .actual_access:  read_only
        .address_space:  global
        .offset:         80
        .size:           8
        .value_kind:     global_buffer
      - .actual_access:  read_only
        .address_space:  global
        .offset:         88
        .size:           8
        .value_kind:     global_buffer
      - .actual_access:  write_only
        .address_space:  global
        .offset:         96
        .size:           8
        .value_kind:     global_buffer
    .group_segment_fixed_size: 0
    .kernarg_segment_align: 8
    .kernarg_segment_size: 104
    .language:       OpenCL C
    .language_version:
      - 2
      - 0
    .max_flat_workgroup_size: 63
    .name:           fft_rtc_fwd_len756_factors_2_2_3_3_3_7_wgs_63_tpt_63_dp_op_CI_CI_unitstride_sbrr_C2R_dirReg
    .private_segment_fixed_size: 0
    .sgpr_count:     34
    .sgpr_spill_count: 0
    .symbol:         fft_rtc_fwd_len756_factors_2_2_3_3_3_7_wgs_63_tpt_63_dp_op_CI_CI_unitstride_sbrr_C2R_dirReg.kd
    .uniform_work_group_size: 1
    .uses_dynamic_stack: false
    .vgpr_count:     82
    .vgpr_spill_count: 0
    .wavefront_size: 64
amdhsa.target:   amdgcn-amd-amdhsa--gfx906
amdhsa.version:
  - 1
  - 2
...

	.end_amdgpu_metadata
